;; amdgpu-corpus repo=zjin-lcf/HeCBench kind=compiled arch=gfx1250 opt=O3
	.amdgcn_target "amdgcn-amd-amdhsa--gfx1250"
	.amdhsa_code_object_version 6
	.text
	.protected	_Z17linear_regressionPK15HIP_vector_typeIfLj2EEPS_IfLj4EE ; -- Begin function _Z17linear_regressionPK15HIP_vector_typeIfLj2EEPS_IfLj4EE
	.globl	_Z17linear_regressionPK15HIP_vector_typeIfLj2EEPS_IfLj4EE
	.p2align	8
	.type	_Z17linear_regressionPK15HIP_vector_typeIfLj2EEPS_IfLj4EE,@function
_Z17linear_regressionPK15HIP_vector_typeIfLj2EEPS_IfLj4EE: ; @_Z17linear_regressionPK15HIP_vector_typeIfLj2EEPS_IfLj4EE
; %bb.0:
	s_clause 0x1
	s_load_b32 s2, s[0:1], 0x1c
	s_load_b64 s[6:7], s[0:1], 0x0
	s_bfe_u32 s3, ttmp6, 0x4000c
	s_and_b32 s4, ttmp6, 15
	s_add_co_i32 s3, s3, 1
	s_getreg_b32 s8, hwreg(HW_REG_IB_STS2, 6, 4)
	s_mul_i32 s3, ttmp9, s3
	s_mov_b32 s5, 0
	s_add_co_i32 s9, s4, s3
	s_mov_b32 s3, s5
	v_lshl_add_u32 v6, v0, 4, 0
	v_mov_b32_e32 v1, 0
	s_wait_kmcnt 0x0
	s_and_b32 s4, s2, 0xffff
	s_cmp_eq_u32 s8, 0
	s_cselect_b32 s2, ttmp9, s9
	s_delay_alu instid0(SALU_CYCLE_1) | instskip(NEXT) | instid1(SALU_CYCLE_1)
	s_mul_u64 s[8:9], s[4:5], s[2:3]
	s_lshl_b64 s[8:9], s[8:9], 3
	s_cmp_lt_u32 s4, 2
	s_add_nc_u64 s[6:7], s[6:7], s[8:9]
	global_load_b64 v[2:3], v0, s[6:7] scale_offset
	s_wait_loadcnt 0x0
	v_pk_mul_f32 v[4:5], v[2:3], v[2:3] op_sel:[1,0] op_sel_hi:[0,0]
	ds_store_b128 v6, v[2:5]
	s_wait_dscnt 0x0
	s_barrier_signal -1
	s_barrier_wait -1
	s_cbranch_scc0 .LBB0_5
.LBB0_1:
	s_mov_b32 s4, exec_lo
	v_cmpx_eq_u32_e32 0, v0
	s_cbranch_execz .LBB0_3
; %bb.2:
	v_mov_b32_e32 v4, 0
	s_load_b64 s[0:1], s[0:1], 0x8
	s_lshl_b64 s[2:3], s[2:3], 4
	ds_load_b128 v[0:3], v4
	s_wait_kmcnt 0x0
	s_add_nc_u64 s[0:1], s[0:1], s[2:3]
	s_wait_dscnt 0x0
	global_store_b128 v4, v[0:3], s[0:1]
.LBB0_3:
	s_endpgm
.LBB0_4:                                ;   in Loop: Header=BB0_5 Depth=1
	s_or_b32 exec_lo, exec_lo, s8
	v_cmp_lt_u64_e64 s6, s[6:7], 4
	s_wait_dscnt 0x0
	s_barrier_signal -1
	s_barrier_wait -1
	s_and_b32 vcc_lo, exec_lo, s6
	s_cbranch_vccnz .LBB0_1
.LBB0_5:                                ; =>This Inner Loop Header: Depth=1
	s_mov_b64 s[6:7], s[4:5]
	s_lshr_b64 s[4:5], s[4:5], 1
	s_mov_b32 s8, exec_lo
	v_cmpx_gt_u64_e64 s[4:5], v[0:1]
	s_cbranch_execz .LBB0_4
; %bb.6:                                ;   in Loop: Header=BB0_5 Depth=1
	s_lshl_b32 s9, s6, 3
	s_add_nc_u64 s[10:11], s[4:5], -1
	s_and_b32 s9, s9, -16
	v_cmp_eq_u64_e32 vcc_lo, s[10:11], v[0:1]
	v_add_nc_u32_e32 v2, s9, v6
	s_bitcmp1_b32 s6, 0
	ds_load_b128 v[2:5], v2
	ds_load_b128 v[8:11], v6
	s_cselect_b32 s9, -1, 0
	s_delay_alu instid0(SALU_CYCLE_1)
	s_and_b32 s9, s9, vcc_lo
	s_wait_dscnt 0x0
	v_pk_add_f32 v[4:5], v[4:5], v[10:11]
	v_pk_add_f32 v[2:3], v[2:3], v[8:9]
	ds_store_b128 v6, v[2:5]
	s_and_b32 exec_lo, exec_lo, s9
	s_cbranch_execz .LBB0_4
; %bb.7:                                ;   in Loop: Header=BB0_5 Depth=1
	s_lshl_b32 s9, s6, 4
	s_delay_alu instid0(SALU_CYCLE_1) | instskip(NEXT) | instid1(SALU_CYCLE_1)
	s_add_co_i32 s9, s9, 0
	s_add_co_i32 s9, s9, -16
	s_delay_alu instid0(SALU_CYCLE_1)
	v_mov_b32_e32 v7, s9
	ds_load_b128 v[8:11], v7
	s_wait_dscnt 0x0
	v_pk_add_f32 v[4:5], v[4:5], v[10:11]
	v_pk_add_f32 v[2:3], v[2:3], v[8:9]
	ds_store_b128 v6, v[2:5]
	s_branch .LBB0_4
	.section	.rodata,"a",@progbits
	.p2align	6, 0x0
	.amdhsa_kernel _Z17linear_regressionPK15HIP_vector_typeIfLj2EEPS_IfLj4EE
		.amdhsa_group_segment_fixed_size 0
		.amdhsa_private_segment_fixed_size 0
		.amdhsa_kernarg_size 272
		.amdhsa_user_sgpr_count 2
		.amdhsa_user_sgpr_dispatch_ptr 0
		.amdhsa_user_sgpr_queue_ptr 0
		.amdhsa_user_sgpr_kernarg_segment_ptr 1
		.amdhsa_user_sgpr_dispatch_id 0
		.amdhsa_user_sgpr_kernarg_preload_length 0
		.amdhsa_user_sgpr_kernarg_preload_offset 0
		.amdhsa_user_sgpr_private_segment_size 0
		.amdhsa_wavefront_size32 1
		.amdhsa_uses_dynamic_stack 0
		.amdhsa_enable_private_segment 0
		.amdhsa_system_sgpr_workgroup_id_x 1
		.amdhsa_system_sgpr_workgroup_id_y 0
		.amdhsa_system_sgpr_workgroup_id_z 0
		.amdhsa_system_sgpr_workgroup_info 0
		.amdhsa_system_vgpr_workitem_id 0
		.amdhsa_next_free_vgpr 12
		.amdhsa_next_free_sgpr 12
		.amdhsa_named_barrier_count 0
		.amdhsa_reserve_vcc 1
		.amdhsa_float_round_mode_32 0
		.amdhsa_float_round_mode_16_64 0
		.amdhsa_float_denorm_mode_32 3
		.amdhsa_float_denorm_mode_16_64 3
		.amdhsa_fp16_overflow 0
		.amdhsa_memory_ordered 1
		.amdhsa_forward_progress 1
		.amdhsa_inst_pref_size 4
		.amdhsa_round_robin_scheduling 0
		.amdhsa_exception_fp_ieee_invalid_op 0
		.amdhsa_exception_fp_denorm_src 0
		.amdhsa_exception_fp_ieee_div_zero 0
		.amdhsa_exception_fp_ieee_overflow 0
		.amdhsa_exception_fp_ieee_underflow 0
		.amdhsa_exception_fp_ieee_inexact 0
		.amdhsa_exception_int_div_zero 0
	.end_amdhsa_kernel
	.text
.Lfunc_end0:
	.size	_Z17linear_regressionPK15HIP_vector_typeIfLj2EEPS_IfLj4EE, .Lfunc_end0-_Z17linear_regressionPK15HIP_vector_typeIfLj2EEPS_IfLj4EE
                                        ; -- End function
	.set _Z17linear_regressionPK15HIP_vector_typeIfLj2EEPS_IfLj4EE.num_vgpr, 12
	.set _Z17linear_regressionPK15HIP_vector_typeIfLj2EEPS_IfLj4EE.num_agpr, 0
	.set _Z17linear_regressionPK15HIP_vector_typeIfLj2EEPS_IfLj4EE.numbered_sgpr, 12
	.set _Z17linear_regressionPK15HIP_vector_typeIfLj2EEPS_IfLj4EE.num_named_barrier, 0
	.set _Z17linear_regressionPK15HIP_vector_typeIfLj2EEPS_IfLj4EE.private_seg_size, 0
	.set _Z17linear_regressionPK15HIP_vector_typeIfLj2EEPS_IfLj4EE.uses_vcc, 1
	.set _Z17linear_regressionPK15HIP_vector_typeIfLj2EEPS_IfLj4EE.uses_flat_scratch, 0
	.set _Z17linear_regressionPK15HIP_vector_typeIfLj2EEPS_IfLj4EE.has_dyn_sized_stack, 0
	.set _Z17linear_regressionPK15HIP_vector_typeIfLj2EEPS_IfLj4EE.has_recursion, 0
	.set _Z17linear_regressionPK15HIP_vector_typeIfLj2EEPS_IfLj4EE.has_indirect_call, 0
	.section	.AMDGPU.csdata,"",@progbits
; Kernel info:
; codeLenInByte = 428
; TotalNumSgprs: 14
; NumVgprs: 12
; ScratchSize: 0
; MemoryBound: 0
; FloatMode: 240
; IeeeMode: 1
; LDSByteSize: 0 bytes/workgroup (compile time only)
; SGPRBlocks: 0
; VGPRBlocks: 0
; NumSGPRsForWavesPerEU: 14
; NumVGPRsForWavesPerEU: 12
; NamedBarCnt: 0
; Occupancy: 16
; WaveLimiterHint : 0
; COMPUTE_PGM_RSRC2:SCRATCH_EN: 0
; COMPUTE_PGM_RSRC2:USER_SGPR: 2
; COMPUTE_PGM_RSRC2:TRAP_HANDLER: 0
; COMPUTE_PGM_RSRC2:TGID_X_EN: 1
; COMPUTE_PGM_RSRC2:TGID_Y_EN: 0
; COMPUTE_PGM_RSRC2:TGID_Z_EN: 0
; COMPUTE_PGM_RSRC2:TIDIG_COMP_CNT: 0
	.text
	.protected	_Z8rsquaredPK15HIP_vector_typeIfLj2EEfS0_PS0_ ; -- Begin function _Z8rsquaredPK15HIP_vector_typeIfLj2EEfS0_PS0_
	.globl	_Z8rsquaredPK15HIP_vector_typeIfLj2EEfS0_PS0_
	.p2align	8
	.type	_Z8rsquaredPK15HIP_vector_typeIfLj2EEfS0_PS0_,@function
_Z8rsquaredPK15HIP_vector_typeIfLj2EEfS0_PS0_: ; @_Z8rsquaredPK15HIP_vector_typeIfLj2EEfS0_PS0_
; %bb.0:
	s_clause 0x1
	s_load_b32 s2, s[0:1], 0x2c
	s_load_b96 s[4:6], s[0:1], 0x0
	s_bfe_u32 s3, ttmp6, 0x4000c
	s_and_b32 s7, ttmp6, 15
	s_add_co_i32 s3, s3, 1
	s_getreg_b32 s8, hwreg(HW_REG_IB_STS2, 6, 4)
	s_mul_i32 s3, ttmp9, s3
	s_mov_b32 s11, 0
	s_add_co_i32 s7, s7, s3
	s_mov_b32 s9, s11
	s_load_b64 s[12:13], s[0:1], 0x10
	s_wait_kmcnt 0x0
	s_and_b32 s10, s2, 0xffff
	s_cmp_eq_u32 s8, 0
	s_cselect_b32 s8, ttmp9, s7
	s_delay_alu instid0(SALU_CYCLE_1) | instskip(NEXT) | instid1(SALU_CYCLE_1)
	s_mul_u64 s[2:3], s[10:11], s[8:9]
	s_lshl_b64 s[2:3], s[2:3], 3
	s_delay_alu instid0(SALU_CYCLE_1)
	s_add_nc_u64 s[2:3], s[4:5], s[2:3]
	global_load_b64 v[2:3], v0, s[2:3] scale_offset
	s_wait_xcnt 0x0
	s_mov_b32 s2, s6
	s_wait_loadcnt 0x0
	v_fma_f32 v5, s13, v2, s12
	v_mov_b32_e32 v4, v3
	s_delay_alu instid0(VALU_DEP_1) | instskip(SKIP_1) | instid1(VALU_DEP_1)
	v_pk_add_f32 v[2:3], v[4:5], s[2:3] op_sel_hi:[1,0] neg_lo:[0,1] neg_hi:[0,1]
	s_mov_b32 s3, 0x3e76c4e1
	v_frexp_mant_f32_e64 v1, |v2|
	s_delay_alu instid0(VALU_DEP_2) | instskip(SKIP_2) | instid1(VALU_DEP_4)
	v_frexp_mant_f32_e64 v4, |v3|
	v_cmp_eq_f32_e64 s5, 0, v2
	v_cmp_class_f32_e64 s7, v2, 0x204
	v_cmp_gt_f32_e32 vcc_lo, 0x3f2aaaab, v1
	s_delay_alu instid0(VALU_DEP_4) | instskip(SKIP_1) | instid1(VALU_DEP_2)
	v_cmp_gt_f32_e64 s2, 0x3f2aaaab, v4
	v_cndmask_b32_e64 v5, 1.0, 2.0, vcc_lo
	v_cndmask_b32_e64 v6, 1.0, 2.0, s2
	s_delay_alu instid0(VALU_DEP_1) | instskip(NEXT) | instid1(VALU_DEP_1)
	v_dual_mul_f32 v1, v1, v5 :: v_dual_mul_f32 v4, v4, v6
	v_dual_add_f32 v6, 1.0, v1 :: v_dual_add_f32 v9, 1.0, v4
	v_dual_add_f32 v5, -1.0, v1 :: v_dual_add_f32 v7, -1.0, v4
	s_delay_alu instid0(VALU_DEP_2) | instskip(SKIP_1) | instid1(VALU_DEP_3)
	v_add_f32_e32 v11, -1.0, v6
	v_rcp_f32_e32 v16, v6
	v_rcp_f32_e32 v17, v9
	s_delay_alu instid0(VALU_DEP_1)
	v_dual_add_f32 v13, -1.0, v9 :: v_dual_sub_f32 v1, v1, v11
	s_delay_alu instid0(TRANS32_DEP_2) | instid1(VALU_DEP_1)
	v_dual_sub_f32 v4, v4, v13 :: v_dual_mul_f32 v18, v5, v16
	s_delay_alu instid0(TRANS32_DEP_1) | instid1(VALU_DEP_1)
	v_dual_mul_f32 v19, v7, v17 :: v_dual_mul_f32 v8, v6, v18
	s_delay_alu instid0(VALU_DEP_1) | instskip(NEXT) | instid1(VALU_DEP_1)
	v_dual_mul_f32 v10, v9, v19 :: v_dual_fma_f32 v12, v18, v6, -v8
	v_fmac_f32_e32 v12, v18, v1
	s_delay_alu instid0(VALU_DEP_2) | instskip(NEXT) | instid1(VALU_DEP_1)
	v_fma_f32 v14, v19, v9, -v10
	v_fmac_f32_e32 v14, v19, v4
	s_delay_alu instid0(VALU_DEP_1) | instskip(NEXT) | instid1(VALU_DEP_1)
	v_dual_add_f32 v4, v8, v12 :: v_dual_add_f32 v6, v10, v14
	v_dual_sub_f32 v9, v5, v4 :: v_dual_mov_b32 v13, v4
	s_delay_alu instid0(VALU_DEP_2) | instskip(NEXT) | instid1(VALU_DEP_2)
	v_sub_f32_e32 v11, v7, v6
	v_pk_add_f32 v[4:5], v[4:5], v[8:9] neg_lo:[0,1] neg_hi:[0,1]
	s_delay_alu instid0(VALU_DEP_1) | instskip(SKIP_1) | instid1(VALU_DEP_4)
	v_pk_add_f32 v[4:5], v[4:5], v[12:13] neg_lo:[0,1] neg_hi:[0,1]
	v_mov_b32_e32 v15, v6
	v_pk_add_f32 v[6:7], v[6:7], v[10:11] neg_lo:[0,1] neg_hi:[0,1]
	v_cvt_f64_f32_e64 v[12:13], |v3|
	s_delay_alu instid0(VALU_DEP_4) | instskip(NEXT) | instid1(VALU_DEP_3)
	v_add_f32_e32 v1, v4, v5
	v_pk_add_f32 v[6:7], v[6:7], v[14:15] neg_lo:[0,1] neg_hi:[0,1]
	s_delay_alu instid0(VALU_DEP_1) | instskip(NEXT) | instid1(VALU_DEP_1)
	v_dual_add_f32 v1, v9, v1 :: v_dual_add_f32 v4, v6, v7
	v_dual_mul_f32 v1, v16, v1 :: v_dual_add_f32 v4, v11, v4
	s_delay_alu instid0(VALU_DEP_1) | instskip(NEXT) | instid1(VALU_DEP_1)
	v_dual_add_f32 v6, v18, v1 :: v_dual_mul_f32 v5, v17, v4
	v_sub_f32_e32 v7, v6, v18
	s_delay_alu instid0(VALU_DEP_2) | instskip(SKIP_1) | instid1(VALU_DEP_2)
	v_dual_mul_f32 v11, v6, v6 :: v_dual_add_f32 v4, v19, v5
	v_ldexp_f32 v29, v6, 1
	v_dual_sub_f32 v1, v1, v7 :: v_dual_mul_f32 v7, v4, v4
	v_sub_f32_e32 v8, v4, v19
	v_frexp_exp_i32_f64_e32 v26, v[12:13]
	s_delay_alu instid0(VALU_DEP_3) | instskip(NEXT) | instid1(VALU_DEP_3)
	v_fma_f32 v15, v4, v4, -v7
	v_dual_sub_f32 v30, v5, v8 :: v_dual_fma_f32 v5, v6, v6, -v11
	s_delay_alu instid0(VALU_DEP_1) | instskip(NEXT) | instid1(VALU_DEP_1)
	v_dual_add_f32 v8, v1, v1 :: v_dual_add_f32 v10, v30, v30
	v_fmac_f32_e32 v5, v6, v8
	v_cvt_f64_f32_e64 v[8:9], |v2|
	s_delay_alu instid0(VALU_DEP_3) | instskip(NEXT) | instid1(VALU_DEP_1)
	v_fmac_f32_e32 v15, v4, v10
	v_add_f32_e32 v14, v7, v15
	s_delay_alu instid0(VALU_DEP_1) | instskip(NEXT) | instid1(VALU_DEP_1)
	v_dual_add_f32 v10, v11, v5 :: v_dual_fmaak_f32 v17, s3, v14, 0x3e91f4c4
	v_dual_fmaak_f32 v16, s3, v10, 0x3e91f4c4 :: v_dual_sub_f32 v11, v10, v11
	s_delay_alu instid0(VALU_DEP_1) | instskip(NEXT) | instid1(VALU_DEP_1)
	v_dual_fmaak_f32 v17, v14, v17, 0x3ecccdef :: v_dual_sub_f32 v24, v5, v11
	v_dual_sub_f32 v7, v14, v7 :: v_dual_mul_f32 v19, v14, v17
	s_delay_alu instid0(VALU_DEP_1) | instskip(NEXT) | instid1(VALU_DEP_1)
	v_dual_fmaak_f32 v16, v10, v16, 0x3ecccdef :: v_dual_sub_f32 v25, v15, v7
	v_mul_f32_e32 v18, v10, v16
	s_delay_alu instid0(VALU_DEP_3) | instskip(SKIP_1) | instid1(VALU_DEP_2)
	v_fma_f32 v7, v14, v17, -v19
	v_frexp_exp_i32_f64_e32 v20, v[8:9]
	v_dual_fma_f32 v5, v10, v16, -v18 :: v_dual_fmac_f32 v7, v25, v17
	s_delay_alu instid0(VALU_DEP_1) | instskip(NEXT) | instid1(VALU_DEP_1)
	v_dual_fmac_f32 v5, v24, v16 :: v_dual_add_f32 v15, v19, v7
	v_dual_add_f32 v8, v18, v5 :: v_dual_sub_f32 v12, v15, v19
	v_add_f32_e32 v13, 0x3f2aaaaa, v15
	s_delay_alu instid0(VALU_DEP_2) | instskip(SKIP_1) | instid1(VALU_DEP_4)
	v_sub_f32_e32 v11, v8, v18
	v_add_f32_e32 v9, 0x3f2aaaaa, v8
	v_sub_f32_e32 v12, v7, v12
	s_delay_alu instid0(VALU_DEP_3) | instskip(NEXT) | instid1(VALU_DEP_1)
	v_dual_add_f32 v16, 0xbf2aaaaa, v13 :: v_dual_sub_f32 v5, v5, v11
	v_sub_f32_e32 v15, v15, v16
	s_delay_alu instid0(VALU_DEP_2) | instskip(NEXT) | instid1(VALU_DEP_4)
	v_add_f32_e32 v7, 0x31739010, v5
	v_add_f32_e32 v5, 0x31739010, v12
	s_delay_alu instid0(VALU_DEP_1) | instskip(SKIP_2) | instid1(VALU_DEP_3)
	v_pk_mul_f32 v[18:19], v[4:5], v[14:15]
	v_subrev_co_ci_u32_e64 v27, null, 0, v20, vcc_lo
	v_cmp_eq_f32_e32 vcc_lo, 1.0, v3
	v_fma_f32 v12, v14, v4, -v18
	s_delay_alu instid0(VALU_DEP_1) | instskip(NEXT) | instid1(VALU_DEP_1)
	v_dual_add_f32 v11, 0xbf2aaaaa, v9 :: v_dual_fmac_f32 v12, v14, v30
	v_sub_f32_e32 v11, v8, v11
	s_delay_alu instid0(VALU_DEP_1) | instskip(NEXT) | instid1(VALU_DEP_1)
	v_pk_mul_f32 v[16:17], v[6:7], v[10:11]
	v_fma_f32 v8, v10, v6, -v16
	s_delay_alu instid0(VALU_DEP_1) | instskip(SKIP_1) | instid1(VALU_DEP_2)
	v_fmac_f32_e32 v8, v10, v1
	v_ldexp_f32 v1, v1, 1
	v_fmac_f32_e32 v8, v24, v6
	v_pk_add_f32 v[20:21], v[6:7], v[10:11]
	v_cvt_f32_i32_e32 v7, v27
	s_delay_alu instid0(VALU_DEP_2) | instskip(SKIP_2) | instid1(VALU_DEP_3)
	v_mov_b32_e32 v17, v21
	v_pk_add_f32 v[22:23], v[4:5], v[14:15]
	v_subrev_co_ci_u32_e64 v5, null, 0, v26, s2
	v_pk_add_f32 v[10:11], v[16:17], v[8:9]
	s_delay_alu instid0(VALU_DEP_3) | instskip(NEXT) | instid1(VALU_DEP_3)
	v_dual_mov_b32 v19, v23 :: v_dual_fmac_f32 v12, v25, v4
	v_cvt_f32_i32_e32 v5, v5
	v_mul_f32_e32 v20, 0x3f317218, v7
	s_delay_alu instid0(VALU_DEP_4) | instskip(NEXT) | instid1(VALU_DEP_4)
	v_dual_mov_b32 v22, v11 :: v_dual_sub_f32 v9, v9, v11
	v_pk_add_f32 v[14:15], v[18:19], v[12:13]
	s_delay_alu instid0(VALU_DEP_4) | instskip(NEXT) | instid1(VALU_DEP_3)
	v_dual_mul_f32 v24, 0x3f317218, v5 :: v_dual_sub_f32 v19, v10, v16
	v_pk_mul_f32 v[16:17], v[10:11], v[22:23]
	s_delay_alu instid0(VALU_DEP_3) | instskip(NEXT) | instid1(VALU_DEP_4)
	v_dual_add_f32 v9, v21, v9 :: v_dual_sub_f32 v17, v14, v18
	v_dual_mov_b32 v26, v15 :: v_dual_sub_f32 v13, v13, v15
	s_delay_alu instid0(VALU_DEP_3) | instskip(SKIP_1) | instid1(VALU_DEP_3)
	v_fma_f32 v18, v10, v11, -v16
	v_fma_f32 v28, 0x3f317218, v7, -v20
	v_pk_mul_f32 v[26:27], v[14:15], v[26:27]
	s_delay_alu instid0(VALU_DEP_4) | instskip(NEXT) | instid1(VALU_DEP_4)
	v_dual_add_f32 v13, v23, v13 :: v_dual_sub_f32 v19, v8, v19
	v_fmac_f32_e32 v18, v10, v9
	s_delay_alu instid0(VALU_DEP_3) | instskip(SKIP_2) | instid1(VALU_DEP_4)
	v_dual_sub_f32 v9, v12, v17 :: v_dual_fma_f32 v22, v14, v15, -v26
	v_fma_f32 v8, 0x3f317218, v5, -v24
	v_dual_fmac_f32 v28, 0xb102e308, v7 :: v_dual_mov_b32 v17, v29
	v_fmac_f32_e32 v18, v19, v11
	s_delay_alu instid0(VALU_DEP_4) | instskip(NEXT) | instid1(VALU_DEP_2)
	v_fmac_f32_e32 v22, v14, v13
	v_dual_fmac_f32 v8, 0xb102e308, v5 :: v_dual_add_f32 v21, v16, v18
	s_delay_alu instid0(VALU_DEP_2) | instskip(SKIP_1) | instid1(VALU_DEP_3)
	v_fmac_f32_e32 v22, v9, v15
	v_ldexp_f32 v9, v4, 1
	v_pk_add_f32 v[4:5], v[20:21], v[28:29]
	s_delay_alu instid0(VALU_DEP_2) | instskip(NEXT) | instid1(VALU_DEP_4)
	v_dual_mov_b32 v19, v21 :: v_dual_mov_b32 v27, v9
	v_dual_add_f32 v25, v26, v22 :: v_dual_mov_b32 v10, v21
	s_delay_alu instid0(VALU_DEP_3) | instskip(NEXT) | instid1(VALU_DEP_2)
	v_dual_mov_b32 v11, v5 :: v_dual_mov_b32 v29, v4
	v_mov_b32_e32 v23, v25
	v_pk_add_f32 v[6:7], v[24:25], v[8:9]
	v_mov_b32_e32 v12, v25
	s_delay_alu instid0(VALU_DEP_4) | instskip(SKIP_1) | instid1(VALU_DEP_4)
	v_pk_add_f32 v[10:11], v[10:11], v[16:17] neg_lo:[0,1] neg_hi:[0,1]
	v_ldexp_f32 v9, v30, 1
	v_dual_mov_b32 v13, v7 :: v_dual_mov_b32 v31, v6
	s_delay_alu instid0(VALU_DEP_3) | instskip(NEXT) | instid1(VALU_DEP_2)
	v_pk_add_f32 v[10:11], v[18:19], v[10:11] neg_lo:[0,1] neg_hi:[0,1]
	v_pk_add_f32 v[12:13], v[12:13], v[26:27] neg_lo:[0,1] neg_hi:[0,1]
	s_delay_alu instid0(VALU_DEP_2) | instskip(NEXT) | instid1(VALU_DEP_2)
	v_dual_mov_b32 v27, v4 :: v_dual_add_f32 v1, v1, v10
	v_pk_add_f32 v[12:13], v[22:23], v[12:13] neg_lo:[0,1] neg_hi:[0,1]
	s_delay_alu instid0(VALU_DEP_1) | instskip(NEXT) | instid1(VALU_DEP_1)
	v_add_f32_e32 v9, v9, v12
	v_dual_add_f32 v25, v9, v13 :: v_dual_mov_b32 v9, v6
	s_delay_alu instid0(VALU_DEP_4) | instskip(NEXT) | instid1(VALU_DEP_2)
	v_add_f32_e32 v21, v1, v11
	v_pk_add_f32 v[12:13], v[6:7], v[24:25]
	v_pk_add_f32 v[16:17], v[6:7], v[24:25] neg_lo:[0,1] neg_hi:[0,1]
	s_delay_alu instid0(VALU_DEP_3) | instskip(SKIP_1) | instid1(VALU_DEP_4)
	v_pk_add_f32 v[10:11], v[4:5], v[20:21]
	v_pk_add_f32 v[14:15], v[4:5], v[20:21] neg_lo:[0,1] neg_hi:[0,1]
	v_dual_mov_b32 v20, v5 :: v_dual_mov_b32 v17, v13
	s_delay_alu instid0(VALU_DEP_3) | instskip(SKIP_1) | instid1(VALU_DEP_3)
	v_dual_mov_b32 v24, v7 :: v_dual_mov_b32 v15, v11
	v_dual_mov_b32 v26, v21 :: v_dual_mov_b32 v30, v25
	v_pk_add_f32 v[22:23], v[8:9], v[16:17]
	s_delay_alu instid0(VALU_DEP_3) | instskip(SKIP_1) | instid1(VALU_DEP_2)
	v_pk_add_f32 v[18:19], v[28:29], v[14:15]
	v_pk_add_f32 v[14:15], v[28:29], v[14:15] neg_lo:[0,1] neg_hi:[0,1]
	v_dual_mov_b32 v22, v23 :: v_dual_mov_b32 v18, v19
	v_mov_b32_e32 v15, v19
	s_delay_alu instid0(VALU_DEP_2) | instskip(NEXT) | instid1(VALU_DEP_3)
	v_pk_add_f32 v[6:7], v[22:23], v[6:7] neg_lo:[0,1] neg_hi:[0,1]
	v_pk_add_f32 v[4:5], v[18:19], v[4:5] neg_lo:[0,1] neg_hi:[0,1]
	v_dual_mov_b32 v18, v11 :: v_dual_mov_b32 v22, v13
	s_delay_alu instid0(VALU_DEP_3) | instskip(NEXT) | instid1(VALU_DEP_3)
	v_dual_mov_b32 v25, v6 :: v_dual_mov_b32 v5, v6
	v_dual_mov_b32 v1, v4 :: v_dual_mov_b32 v21, v4
	v_pk_add_f32 v[6:7], v[8:9], v[16:17] neg_lo:[0,1] neg_hi:[0,1]
	s_delay_alu instid0(VALU_DEP_3) | instskip(SKIP_1) | instid1(VALU_DEP_4)
	v_pk_add_f32 v[16:17], v[22:23], v[24:25] neg_lo:[0,1] neg_hi:[0,1]
	v_mov_b32_e32 v7, v23
	v_pk_add_f32 v[8:9], v[10:11], v[0:1] neg_lo:[0,1] neg_hi:[0,1]
	v_pk_add_f32 v[10:11], v[18:19], v[20:21] neg_lo:[0,1] neg_hi:[0,1]
	v_mov_b32_e32 v8, v14
	v_pk_add_f32 v[4:5], v[12:13], v[4:5] neg_lo:[0,1] neg_hi:[0,1]
	;; [unrolled: 3-line block ×3, first 2 shown]
	s_delay_alu instid0(VALU_DEP_1) | instskip(NEXT) | instid1(VALU_DEP_1)
	v_pk_add_f32 v[8:9], v[8:9], v[10:11]
	v_dual_mov_b32 v4, v6 :: v_dual_mov_b32 v16, v8
	s_delay_alu instid0(VALU_DEP_1) | instskip(NEXT) | instid1(VALU_DEP_1)
	v_pk_add_f32 v[4:5], v[4:5], v[12:13]
	v_dual_mov_b32 v20, v9 :: v_dual_mov_b32 v17, v4
	s_delay_alu instid0(VALU_DEP_2) | instskip(NEXT) | instid1(VALU_DEP_1)
	v_mov_b32_e32 v21, v5
	v_pk_add_f32 v[20:21], v[16:17], v[20:21]
	s_delay_alu instid0(VALU_DEP_1) | instskip(SKIP_1) | instid1(VALU_DEP_2)
	v_pk_add_f32 v[24:25], v[22:23], v[20:21]
	v_dual_mov_b32 v11, v20 :: v_dual_mov_b32 v13, v21
	v_dual_mov_b32 v9, v24 :: v_dual_mov_b32 v5, v25
	s_delay_alu instid0(VALU_DEP_1) | instskip(NEXT) | instid1(VALU_DEP_2)
	v_pk_add_f32 v[8:9], v[8:9], v[14:15] neg_lo:[0,1] neg_hi:[0,1]
	v_pk_add_f32 v[4:5], v[4:5], v[6:7] neg_lo:[0,1] neg_hi:[0,1]
	v_mov_b32_e32 v15, v6
	s_delay_alu instid0(VALU_DEP_3) | instskip(NEXT) | instid1(VALU_DEP_3)
	v_pk_add_f32 v[10:11], v[10:11], v[8:9] neg_lo:[0,1] neg_hi:[0,1]
	v_mov_b32_e32 v9, v4
	s_delay_alu instid0(VALU_DEP_4) | instskip(NEXT) | instid1(VALU_DEP_2)
	v_pk_add_f32 v[4:5], v[12:13], v[4:5] neg_lo:[0,1] neg_hi:[0,1]
	v_pk_add_f32 v[6:7], v[16:17], v[8:9] neg_lo:[0,1] neg_hi:[0,1]
	s_delay_alu instid0(VALU_DEP_2) | instskip(SKIP_1) | instid1(VALU_DEP_3)
	v_dual_mov_b32 v8, v10 :: v_dual_mov_b32 v9, v4
	v_mov_b32_e32 v4, v11
	v_pk_add_f32 v[6:7], v[14:15], v[6:7] neg_lo:[0,1] neg_hi:[0,1]
	s_delay_alu instid0(VALU_DEP_1) | instskip(NEXT) | instid1(VALU_DEP_1)
	v_pk_add_f32 v[6:7], v[8:9], v[6:7]
	v_pk_add_f32 v[4:5], v[6:7], v[4:5]
	v_cndmask_b32_e64 v7, 2.0, 1.0, vcc_lo
	v_cmp_eq_f32_e32 vcc_lo, 1.0, v2
	s_delay_alu instid0(VALU_DEP_3) | instskip(NEXT) | instid1(VALU_DEP_3)
	v_pk_add_f32 v[8:9], v[24:25], v[4:5]
	v_trunc_f32_e32 v22, v7
	v_cndmask_b32_e64 v6, 2.0, 1.0, vcc_lo
	s_delay_alu instid0(VALU_DEP_3) | instskip(NEXT) | instid1(VALU_DEP_3)
	v_pk_add_f32 v[10:11], v[8:9], v[24:25] neg_lo:[0,1] neg_hi:[0,1]
	v_cmp_eq_f32_e64 s2, v22, v7
	s_delay_alu instid0(VALU_DEP_3) | instskip(SKIP_1) | instid1(VALU_DEP_4)
	v_pk_mul_f32 v[12:13], v[6:7], v[8:9]
	v_trunc_f32_e32 v20, v6
	v_pk_add_f32 v[4:5], v[4:5], v[10:11] neg_lo:[0,1] neg_hi:[0,1]
	v_pk_mul_f32 v[10:11], v[6:7], 0.5 op_sel_hi:[1,0]
	s_delay_alu instid0(VALU_DEP_4) | instskip(SKIP_2) | instid1(VALU_DEP_4)
	v_fma_f32 v1, v6, v8, -v12
	v_cmp_class_f32_e64 vcc_lo, v12, 0x204
	v_fma_f32 v8, v7, v9, -v13
	v_trunc_f32_e32 v27, v10
	s_delay_alu instid0(VALU_DEP_2) | instskip(NEXT) | instid1(VALU_DEP_1)
	v_dual_fmac_f32 v1, v6, v4 :: v_dual_fmac_f32 v8, v7, v5
	v_dual_add_f32 v5, v12, v1 :: v_dual_add_f32 v14, v13, v8
	s_delay_alu instid0(VALU_DEP_1) | instskip(SKIP_1) | instid1(VALU_DEP_3)
	v_cndmask_b32_e32 v15, v5, v12, vcc_lo
	v_cmp_class_f32_e64 vcc_lo, v13, 0x204
	v_dual_sub_f32 v5, v5, v12 :: v_dual_cndmask_b32 v16, v14, v13
	s_delay_alu instid0(VALU_DEP_3) | instskip(NEXT) | instid1(VALU_DEP_2)
	v_cmp_eq_f32_e32 vcc_lo, 0x42b17218, v15
	v_sub_f32_e32 v1, v1, v5
	s_delay_alu instid0(VALU_DEP_4) | instskip(NEXT) | instid1(VALU_DEP_1)
	v_cndmask_b32_e64 v4, 0, 0x37000000, vcc_lo
	v_sub_f32_e32 v17, v15, v4
	v_cmp_eq_f32_e32 vcc_lo, 0x42b17218, v16
	v_cmp_class_f32_e64 s3, v16, 0x204
	v_cndmask_b32_e64 v9, 0, 0x37000000, vcc_lo
	v_cmp_eq_f32_e32 vcc_lo, v20, v6
	v_sub_f32_e32 v6, v14, v13
	v_mul_f32_e32 v19, 0x3fb8aa3b, v17
	v_trunc_f32_e32 v14, v11
	s_delay_alu instid0(VALU_DEP_3) | instskip(NEXT) | instid1(VALU_DEP_3)
	v_sub_f32_e32 v6, v8, v6
	v_rndne_f32_e32 v24, v19
	v_sub_f32_e32 v18, v16, v9
	v_fma_f32 v23, 0x3fb8aa3b, v17, -v19
	v_cmp_neq_f32_e64 s4, v14, v11
	v_cndmask_b32_e64 v5, v6, 0, s3
	v_sub_f32_e32 v19, v19, v24
	v_mul_f32_e32 v21, 0x3fb8aa3b, v18
	v_fmac_f32_e32 v23, 0x32a5705f, v17
	v_cvt_i32_f32_e32 v12, v24
	v_cmp_class_f32_e64 s3, v15, 0x204
	s_and_b32 s4, s2, s4
	v_rndne_f32_e32 v26, v21
	v_fma_f32 v25, 0x3fb8aa3b, v18, -v21
	s_delay_alu instid0(VALU_DEP_2) | instskip(NEXT) | instid1(VALU_DEP_2)
	v_dual_add_f32 v7, v19, v23 :: v_dual_sub_f32 v21, v21, v26
	v_fmac_f32_e32 v25, 0x32a5705f, v18
	s_delay_alu instid0(VALU_DEP_2) | instskip(SKIP_1) | instid1(TRANS32_DEP_1)
	v_exp_f32_e32 v7, v7
	v_nop
	v_ldexp_f32 v6, v7, v12
	s_delay_alu instid0(VALU_DEP_3) | instskip(NEXT) | instid1(VALU_DEP_1)
	v_add_f32_e32 v13, v21, v25
	v_exp_f32_e32 v8, v13
	v_nop
	v_cvt_i32_f32_e32 v13, v26
	s_delay_alu instid0(TRANS32_DEP_1) | instid1(VALU_DEP_1)
	v_ldexp_f32 v7, v8, v13
	v_cndmask_b32_e64 v8, v1, 0, s3
	v_cmp_ngt_f32_e64 s3, 0xc2ce8ed0, v17
	s_delay_alu instid0(VALU_DEP_2) | instskip(NEXT) | instid1(VALU_DEP_2)
	v_pk_add_f32 v[4:5], v[8:9], v[4:5]
	v_cndmask_b32_e64 v1, 0, v6, s3
	v_cmp_ngt_f32_e64 s3, 0xc2ce8ed0, v18
	v_cndmask_b32_e64 v9, 1.0, v3, s4
	s_delay_alu instid0(VALU_DEP_2) | instskip(SKIP_1) | instid1(VALU_DEP_1)
	v_cndmask_b32_e64 v7, 0, v7, s3
	v_cmp_nlt_f32_e64 s3, 0x42b17218, v17
	v_cndmask_b32_e64 v6, 0x7f800000, v1, s3
	v_cmp_nlt_f32_e64 s3, 0x42b17218, v18
	v_cndmask_b32_e64 v1, 0x7f800000, 0, s5
	s_delay_alu instid0(VALU_DEP_2) | instskip(SKIP_1) | instid1(VALU_DEP_2)
	v_cndmask_b32_e64 v7, 0x7f800000, v7, s3
	v_cmp_neq_f32_e64 s3, v27, v10
	v_pk_fma_f32 v[4:5], v[6:7], v[4:5], v[6:7]
	v_cmp_class_f32_e64 s6, v7, 0x204
	s_and_b32 s3, vcc_lo, s3
	s_delay_alu instid0(SALU_CYCLE_1) | instskip(SKIP_1) | instid1(VALU_DEP_1)
	v_dual_cndmask_b32 v8, 1.0, v2, s3 :: v_dual_cndmask_b32 v5, v5, v7, s6
	v_cmp_class_f32_e64 s6, v6, 0x204
	v_dual_cndmask_b32 v7, 0, v3, s4 :: v_dual_cndmask_b32 v4, v4, v6, s6
	v_cmp_eq_f32_e64 s6, 0, v3
	s_delay_alu instid0(VALU_DEP_4) | instskip(NEXT) | instid1(VALU_DEP_3)
	v_bfi_b32 v5, 0x7fffffff, v5, v9
	v_bfi_b32 v4, 0x7fffffff, v4, v8
	s_delay_alu instid0(VALU_DEP_3) | instskip(SKIP_1) | instid1(VALU_DEP_4)
	v_cndmask_b32_e64 v6, 0x7f800000, 0, s6
	v_cndmask_b32_e64 v8, 0, v2, s3
	;; [unrolled: 1-line block ×3, first 2 shown]
	v_cmp_class_f32_e64 s3, v3, 0x204
	s_delay_alu instid0(VALU_DEP_4)
	v_bfi_b32 v6, 0x7fffffff, v6, v7
	v_cndmask_b32_e32 v7, 0x7fc00000, v4, vcc_lo
	v_cmp_gt_f32_e32 vcc_lo, 0, v3
	v_bfi_b32 v1, 0x7fffffff, v1, v8
	v_cndmask_b32_e32 v5, v5, v9, vcc_lo
	v_cmp_gt_f32_e32 vcc_lo, 0, v2
	v_cndmask_b32_e32 v4, v4, v7, vcc_lo
	s_or_b32 vcc_lo, s6, s3
	s_delay_alu instid0(VALU_DEP_3)
	v_cndmask_b32_e32 v5, v5, v6, vcc_lo
	s_or_b32 vcc_lo, s5, s7
	s_cmp_lt_u32 s10, 2
	v_cndmask_b32_e32 v1, v4, v1, vcc_lo
	v_cmp_o_f32_e32 vcc_lo, v3, v3
	v_lshl_add_u32 v4, v0, 3, 0
	v_cndmask_b32_e32 v3, 0x7fc00000, v5, vcc_lo
	v_cmp_o_f32_e32 vcc_lo, v2, v2
	v_dual_cndmask_b32 v2, 0x7fc00000, v1 :: v_dual_mov_b32 v1, 0
	ds_store_b64 v4, v[2:3]
	s_wait_dscnt 0x0
	s_barrier_signal -1
	s_barrier_wait -1
	s_cbranch_scc0 .LBB1_5
.LBB1_1:
	s_mov_b32 s2, exec_lo
	v_cmpx_eq_u32_e32 0, v0
	s_cbranch_execz .LBB1_3
; %bb.2:
	v_mov_b32_e32 v2, 0
	s_load_b64 s[0:1], s[0:1], 0x18
	s_lshl_b64 s[2:3], s[8:9], 3
	ds_load_b64 v[0:1], v2
	s_wait_kmcnt 0x0
	s_add_nc_u64 s[0:1], s[0:1], s[2:3]
	s_wait_dscnt 0x0
	global_store_b64 v2, v[0:1], s[0:1]
.LBB1_3:
	s_endpgm
.LBB1_4:                                ;   in Loop: Header=BB1_5 Depth=1
	s_or_b32 exec_lo, exec_lo, s4
	v_cmp_lt_u64_e64 s2, s[2:3], 4
	s_wait_dscnt 0x0
	s_barrier_signal -1
	s_barrier_wait -1
	s_and_b32 vcc_lo, exec_lo, s2
	s_cbranch_vccnz .LBB1_1
.LBB1_5:                                ; =>This Inner Loop Header: Depth=1
	s_mov_b64 s[2:3], s[10:11]
	s_lshr_b64 s[10:11], s[10:11], 1
	s_mov_b32 s4, exec_lo
	v_cmpx_gt_u64_e64 s[10:11], v[0:1]
	s_cbranch_execz .LBB1_4
; %bb.6:                                ;   in Loop: Header=BB1_5 Depth=1
	s_lshl_b32 s5, s2, 2
	s_add_nc_u64 s[6:7], s[10:11], -1
	s_and_b32 s5, s5, -8
	v_cmp_eq_u64_e32 vcc_lo, s[6:7], v[0:1]
	v_add_nc_u32_e32 v2, s5, v4
	s_bitcmp1_b32 s2, 0
	ds_load_b64 v[2:3], v2
	ds_load_b64 v[6:7], v4
	s_cselect_b32 s5, -1, 0
	s_delay_alu instid0(SALU_CYCLE_1)
	s_and_b32 s5, s5, vcc_lo
	s_wait_dscnt 0x0
	v_pk_add_f32 v[2:3], v[2:3], v[6:7]
	ds_store_b64 v4, v[2:3]
	s_and_b32 exec_lo, exec_lo, s5
	s_cbranch_execz .LBB1_4
; %bb.7:                                ;   in Loop: Header=BB1_5 Depth=1
	s_lshl_b32 s5, s2, 3
	s_delay_alu instid0(SALU_CYCLE_1) | instskip(NEXT) | instid1(SALU_CYCLE_1)
	s_add_co_i32 s5, s5, 0
	s_add_co_i32 s5, s5, -8
	s_delay_alu instid0(SALU_CYCLE_1)
	v_mov_b32_e32 v5, s5
	ds_load_b64 v[6:7], v5
	s_wait_dscnt 0x0
	v_pk_add_f32 v[2:3], v[2:3], v[6:7]
	ds_store_b64 v4, v[2:3]
	s_branch .LBB1_4
	.section	.rodata,"a",@progbits
	.p2align	6, 0x0
	.amdhsa_kernel _Z8rsquaredPK15HIP_vector_typeIfLj2EEfS0_PS0_
		.amdhsa_group_segment_fixed_size 0
		.amdhsa_private_segment_fixed_size 0
		.amdhsa_kernarg_size 288
		.amdhsa_user_sgpr_count 2
		.amdhsa_user_sgpr_dispatch_ptr 0
		.amdhsa_user_sgpr_queue_ptr 0
		.amdhsa_user_sgpr_kernarg_segment_ptr 1
		.amdhsa_user_sgpr_dispatch_id 0
		.amdhsa_user_sgpr_kernarg_preload_length 0
		.amdhsa_user_sgpr_kernarg_preload_offset 0
		.amdhsa_user_sgpr_private_segment_size 0
		.amdhsa_wavefront_size32 1
		.amdhsa_uses_dynamic_stack 0
		.amdhsa_enable_private_segment 0
		.amdhsa_system_sgpr_workgroup_id_x 1
		.amdhsa_system_sgpr_workgroup_id_y 0
		.amdhsa_system_sgpr_workgroup_id_z 0
		.amdhsa_system_sgpr_workgroup_info 0
		.amdhsa_system_vgpr_workitem_id 0
		.amdhsa_next_free_vgpr 32
		.amdhsa_next_free_sgpr 14
		.amdhsa_named_barrier_count 0
		.amdhsa_reserve_vcc 1
		.amdhsa_float_round_mode_32 0
		.amdhsa_float_round_mode_16_64 0
		.amdhsa_float_denorm_mode_32 3
		.amdhsa_float_denorm_mode_16_64 3
		.amdhsa_fp16_overflow 0
		.amdhsa_memory_ordered 1
		.amdhsa_forward_progress 1
		.amdhsa_inst_pref_size 23
		.amdhsa_round_robin_scheduling 0
		.amdhsa_exception_fp_ieee_invalid_op 0
		.amdhsa_exception_fp_denorm_src 0
		.amdhsa_exception_fp_ieee_div_zero 0
		.amdhsa_exception_fp_ieee_overflow 0
		.amdhsa_exception_fp_ieee_underflow 0
		.amdhsa_exception_fp_ieee_inexact 0
		.amdhsa_exception_int_div_zero 0
	.end_amdhsa_kernel
	.text
.Lfunc_end1:
	.size	_Z8rsquaredPK15HIP_vector_typeIfLj2EEfS0_PS0_, .Lfunc_end1-_Z8rsquaredPK15HIP_vector_typeIfLj2EEfS0_PS0_
                                        ; -- End function
	.set _Z8rsquaredPK15HIP_vector_typeIfLj2EEfS0_PS0_.num_vgpr, 32
	.set _Z8rsquaredPK15HIP_vector_typeIfLj2EEfS0_PS0_.num_agpr, 0
	.set _Z8rsquaredPK15HIP_vector_typeIfLj2EEfS0_PS0_.numbered_sgpr, 14
	.set _Z8rsquaredPK15HIP_vector_typeIfLj2EEfS0_PS0_.num_named_barrier, 0
	.set _Z8rsquaredPK15HIP_vector_typeIfLj2EEfS0_PS0_.private_seg_size, 0
	.set _Z8rsquaredPK15HIP_vector_typeIfLj2EEfS0_PS0_.uses_vcc, 1
	.set _Z8rsquaredPK15HIP_vector_typeIfLj2EEfS0_PS0_.uses_flat_scratch, 0
	.set _Z8rsquaredPK15HIP_vector_typeIfLj2EEfS0_PS0_.has_dyn_sized_stack, 0
	.set _Z8rsquaredPK15HIP_vector_typeIfLj2EEfS0_PS0_.has_recursion, 0
	.set _Z8rsquaredPK15HIP_vector_typeIfLj2EEfS0_PS0_.has_indirect_call, 0
	.section	.AMDGPU.csdata,"",@progbits
; Kernel info:
; codeLenInByte = 2892
; TotalNumSgprs: 16
; NumVgprs: 32
; ScratchSize: 0
; MemoryBound: 0
; FloatMode: 240
; IeeeMode: 1
; LDSByteSize: 0 bytes/workgroup (compile time only)
; SGPRBlocks: 0
; VGPRBlocks: 1
; NumSGPRsForWavesPerEU: 16
; NumVGPRsForWavesPerEU: 32
; NamedBarCnt: 0
; Occupancy: 16
; WaveLimiterHint : 0
; COMPUTE_PGM_RSRC2:SCRATCH_EN: 0
; COMPUTE_PGM_RSRC2:USER_SGPR: 2
; COMPUTE_PGM_RSRC2:TRAP_HANDLER: 0
; COMPUTE_PGM_RSRC2:TGID_X_EN: 1
; COMPUTE_PGM_RSRC2:TGID_Y_EN: 0
; COMPUTE_PGM_RSRC2:TGID_Z_EN: 0
; COMPUTE_PGM_RSRC2:TIDIG_COMP_CNT: 0
	.text
	.p2alignl 7, 3214868480
	.fill 96, 4, 3214868480
	.section	.AMDGPU.gpr_maximums,"",@progbits
	.set amdgpu.max_num_vgpr, 0
	.set amdgpu.max_num_agpr, 0
	.set amdgpu.max_num_sgpr, 0
	.text
	.type	__hip_cuid_a9d8042f77abfd7,@object ; @__hip_cuid_a9d8042f77abfd7
	.section	.bss,"aw",@nobits
	.globl	__hip_cuid_a9d8042f77abfd7
__hip_cuid_a9d8042f77abfd7:
	.byte	0                               ; 0x0
	.size	__hip_cuid_a9d8042f77abfd7, 1

	.ident	"AMD clang version 22.0.0git (https://github.com/RadeonOpenCompute/llvm-project roc-7.2.4 26084 f58b06dce1f9c15707c5f808fd002e18c2accf7e)"
	.section	".note.GNU-stack","",@progbits
	.addrsig
	.addrsig_sym __hip_cuid_a9d8042f77abfd7
	.amdgpu_metadata
---
amdhsa.kernels:
  - .args:
      - .actual_access:  read_only
        .address_space:  global
        .offset:         0
        .size:           8
        .value_kind:     global_buffer
      - .actual_access:  write_only
        .address_space:  global
        .offset:         8
        .size:           8
        .value_kind:     global_buffer
      - .offset:         16
        .size:           4
        .value_kind:     hidden_block_count_x
      - .offset:         20
        .size:           4
        .value_kind:     hidden_block_count_y
      - .offset:         24
        .size:           4
        .value_kind:     hidden_block_count_z
      - .offset:         28
        .size:           2
        .value_kind:     hidden_group_size_x
      - .offset:         30
        .size:           2
        .value_kind:     hidden_group_size_y
      - .offset:         32
        .size:           2
        .value_kind:     hidden_group_size_z
      - .offset:         34
        .size:           2
        .value_kind:     hidden_remainder_x
      - .offset:         36
        .size:           2
        .value_kind:     hidden_remainder_y
      - .offset:         38
        .size:           2
        .value_kind:     hidden_remainder_z
      - .offset:         56
        .size:           8
        .value_kind:     hidden_global_offset_x
      - .offset:         64
        .size:           8
        .value_kind:     hidden_global_offset_y
      - .offset:         72
        .size:           8
        .value_kind:     hidden_global_offset_z
      - .offset:         80
        .size:           2
        .value_kind:     hidden_grid_dims
      - .offset:         136
        .size:           4
        .value_kind:     hidden_dynamic_lds_size
    .group_segment_fixed_size: 0
    .kernarg_segment_align: 8
    .kernarg_segment_size: 272
    .language:       OpenCL C
    .language_version:
      - 2
      - 0
    .max_flat_workgroup_size: 1024
    .name:           _Z17linear_regressionPK15HIP_vector_typeIfLj2EEPS_IfLj4EE
    .private_segment_fixed_size: 0
    .sgpr_count:     14
    .sgpr_spill_count: 0
    .symbol:         _Z17linear_regressionPK15HIP_vector_typeIfLj2EEPS_IfLj4EE.kd
    .uniform_work_group_size: 1
    .uses_dynamic_stack: false
    .vgpr_count:     12
    .vgpr_spill_count: 0
    .wavefront_size: 32
  - .args:
      - .actual_access:  read_only
        .address_space:  global
        .offset:         0
        .size:           8
        .value_kind:     global_buffer
      - .offset:         8
        .size:           4
        .value_kind:     by_value
      - .offset:         16
        .size:           8
        .value_kind:     by_value
      - .actual_access:  write_only
        .address_space:  global
        .offset:         24
        .size:           8
        .value_kind:     global_buffer
      - .offset:         32
        .size:           4
        .value_kind:     hidden_block_count_x
      - .offset:         36
        .size:           4
        .value_kind:     hidden_block_count_y
      - .offset:         40
        .size:           4
        .value_kind:     hidden_block_count_z
      - .offset:         44
        .size:           2
        .value_kind:     hidden_group_size_x
      - .offset:         46
        .size:           2
        .value_kind:     hidden_group_size_y
      - .offset:         48
        .size:           2
        .value_kind:     hidden_group_size_z
      - .offset:         50
        .size:           2
        .value_kind:     hidden_remainder_x
      - .offset:         52
        .size:           2
        .value_kind:     hidden_remainder_y
      - .offset:         54
        .size:           2
        .value_kind:     hidden_remainder_z
      - .offset:         72
        .size:           8
        .value_kind:     hidden_global_offset_x
      - .offset:         80
        .size:           8
        .value_kind:     hidden_global_offset_y
      - .offset:         88
        .size:           8
        .value_kind:     hidden_global_offset_z
      - .offset:         96
        .size:           2
        .value_kind:     hidden_grid_dims
      - .offset:         152
        .size:           4
        .value_kind:     hidden_dynamic_lds_size
    .group_segment_fixed_size: 0
    .kernarg_segment_align: 8
    .kernarg_segment_size: 288
    .language:       OpenCL C
    .language_version:
      - 2
      - 0
    .max_flat_workgroup_size: 1024
    .name:           _Z8rsquaredPK15HIP_vector_typeIfLj2EEfS0_PS0_
    .private_segment_fixed_size: 0
    .sgpr_count:     16
    .sgpr_spill_count: 0
    .symbol:         _Z8rsquaredPK15HIP_vector_typeIfLj2EEfS0_PS0_.kd
    .uniform_work_group_size: 1
    .uses_dynamic_stack: false
    .vgpr_count:     32
    .vgpr_spill_count: 0
    .wavefront_size: 32
amdhsa.target:   amdgcn-amd-amdhsa--gfx1250
amdhsa.version:
  - 1
  - 2
...

	.end_amdgpu_metadata
